;; amdgpu-corpus repo=ROCm/rocFFT kind=compiled arch=gfx906 opt=O3
	.text
	.amdgcn_target "amdgcn-amd-amdhsa--gfx906"
	.amdhsa_code_object_version 6
	.protected	fft_rtc_fwd_len200_factors_5_8_5_wgs_400_tpt_40_dp_op_CI_CI_sbcc_twdbase8_2step_dirReg_intrinsicReadWrite ; -- Begin function fft_rtc_fwd_len200_factors_5_8_5_wgs_400_tpt_40_dp_op_CI_CI_sbcc_twdbase8_2step_dirReg_intrinsicReadWrite
	.globl	fft_rtc_fwd_len200_factors_5_8_5_wgs_400_tpt_40_dp_op_CI_CI_sbcc_twdbase8_2step_dirReg_intrinsicReadWrite
	.p2align	8
	.type	fft_rtc_fwd_len200_factors_5_8_5_wgs_400_tpt_40_dp_op_CI_CI_sbcc_twdbase8_2step_dirReg_intrinsicReadWrite,@function
fft_rtc_fwd_len200_factors_5_8_5_wgs_400_tpt_40_dp_op_CI_CI_sbcc_twdbase8_2step_dirReg_intrinsicReadWrite: ; @fft_rtc_fwd_len200_factors_5_8_5_wgs_400_tpt_40_dp_op_CI_CI_sbcc_twdbase8_2step_dirReg_intrinsicReadWrite
; %bb.0:
	s_load_dwordx4 s[0:3], s[4:5], 0x18
	s_load_dwordx2 s[30:31], s[4:5], 0x28
	s_mov_b32 s7, 0
	s_mov_b64 s[24:25], 0
	s_waitcnt lgkmcnt(0)
	s_load_dwordx2 s[28:29], s[0:1], 0x8
	s_waitcnt lgkmcnt(0)
	s_add_u32 s8, s28, -1
	s_addc_u32 s9, s29, -1
	s_add_u32 s10, 0, 0x99986000
	s_addc_u32 s11, 0, 0x59
	s_mul_hi_u32 s13, s10, -10
	s_add_i32 s11, s11, 0x19999940
	s_sub_i32 s13, s13, s10
	s_mul_i32 s16, s11, -10
	s_mul_i32 s12, s10, -10
	s_add_i32 s13, s13, s16
	s_mul_hi_u32 s14, s11, s12
	s_mul_i32 s15, s11, s12
	s_mul_i32 s17, s10, s13
	s_mul_hi_u32 s12, s10, s12
	s_mul_hi_u32 s16, s10, s13
	s_add_u32 s12, s12, s17
	s_addc_u32 s16, 0, s16
	s_add_u32 s12, s12, s15
	s_mul_hi_u32 s17, s11, s13
	s_addc_u32 s12, s16, s14
	s_addc_u32 s14, s17, 0
	s_mul_i32 s13, s11, s13
	s_add_u32 s12, s12, s13
	v_mov_b32_e32 v1, s12
	s_addc_u32 s13, 0, s14
	v_add_co_u32_e32 v1, vcc, s10, v1
	s_cmp_lg_u64 vcc, 0
	s_addc_u32 s10, s11, s13
	v_readfirstlane_b32 s13, v1
	s_mul_i32 s12, s8, s10
	s_mul_hi_u32 s14, s8, s13
	s_mul_hi_u32 s11, s8, s10
	s_add_u32 s12, s14, s12
	s_addc_u32 s11, 0, s11
	s_mul_hi_u32 s15, s9, s13
	s_mul_i32 s13, s9, s13
	s_add_u32 s12, s12, s13
	s_mul_hi_u32 s14, s9, s10
	s_addc_u32 s11, s11, s15
	s_addc_u32 s12, s14, 0
	s_mul_i32 s10, s9, s10
	s_add_u32 s10, s11, s10
	s_addc_u32 s11, 0, s12
	s_add_u32 s12, s10, 1
	s_addc_u32 s13, s11, 0
	s_add_u32 s14, s10, 2
	s_mul_i32 s16, s11, 10
	s_mul_hi_u32 s17, s10, 10
	s_addc_u32 s15, s11, 0
	s_add_i32 s17, s17, s16
	s_mul_i32 s16, s10, 10
	v_mov_b32_e32 v1, s16
	v_sub_co_u32_e32 v1, vcc, s8, v1
	s_cmp_lg_u64 vcc, 0
	s_subb_u32 s8, s9, s17
	v_subrev_co_u32_e32 v2, vcc, 10, v1
	s_cmp_lg_u64 vcc, 0
	s_subb_u32 s9, s8, 0
	v_readfirstlane_b32 s16, v2
	s_cmp_gt_u32 s16, 9
	s_cselect_b32 s16, -1, 0
	s_cmp_eq_u32 s9, 0
	s_cselect_b32 s9, s16, -1
	s_cmp_lg_u32 s9, 0
	s_cselect_b32 s9, s14, s12
	s_cselect_b32 s12, s15, s13
	v_readfirstlane_b32 s13, v1
	s_cmp_gt_u32 s13, 9
	s_cselect_b32 s13, -1, 0
	s_cmp_eq_u32 s8, 0
	s_cselect_b32 s8, s13, -1
	s_cmp_lg_u32 s8, 0
	s_cselect_b32 s9, s9, s10
	s_cselect_b32 s8, s12, s11
	s_add_u32 s34, s9, 1
	s_addc_u32 s35, s8, 0
	v_mov_b32_e32 v1, s34
	v_mov_b32_e32 v2, s35
	v_cmp_lt_u64_e32 vcc, s[6:7], v[1:2]
	s_cbranch_vccnz .LBB0_2
; %bb.1:
	v_cvt_f32_u32_e32 v1, s34
	s_sub_i32 s8, 0, s34
	s_mov_b32 s25, s7
	v_rcp_iflag_f32_e32 v1, v1
	v_mul_f32_e32 v1, 0x4f7ffffe, v1
	v_cvt_u32_f32_e32 v1, v1
	v_readfirstlane_b32 s9, v1
	s_mul_i32 s8, s8, s9
	s_mul_hi_u32 s8, s9, s8
	s_add_i32 s9, s9, s8
	s_mul_hi_u32 s8, s6, s9
	s_mul_i32 s10, s8, s34
	s_sub_i32 s10, s6, s10
	s_add_i32 s9, s8, 1
	s_sub_i32 s11, s10, s34
	s_cmp_ge_u32 s10, s34
	s_cselect_b32 s8, s9, s8
	s_cselect_b32 s10, s11, s10
	s_add_i32 s9, s8, 1
	s_cmp_ge_u32 s10, s34
	s_cselect_b32 s24, s9, s8
.LBB0_2:
	s_load_dwordx4 s[12:15], s[4:5], 0x60
	s_load_dwordx4 s[20:23], s[2:3], 0x0
	;; [unrolled: 1-line block ×3, first 2 shown]
	s_load_dwordx2 s[26:27], s[4:5], 0x0
	s_load_dwordx4 s[16:19], s[4:5], 0x8
	s_mul_i32 s4, s24, s35
	s_mul_hi_u32 s5, s24, s34
	s_add_i32 s5, s5, s4
	s_mul_i32 s4, s24, s34
	s_sub_u32 s33, s6, s4
	s_subb_u32 s4, 0, s5
	s_mul_i32 s4, s4, 10
	s_waitcnt lgkmcnt(0)
	s_mul_hi_u32 s21, s33, 10
	s_add_i32 s21, s21, s4
	s_mul_i32 s33, s33, 10
	s_mul_i32 s4, s22, s21
	s_mul_hi_u32 s5, s22, s33
	s_add_i32 s4, s5, s4
	s_mul_i32 s5, s23, s33
	s_add_i32 s48, s4, s5
	s_mul_i32 s4, s10, s21
	s_mul_hi_u32 s5, s10, s33
	s_add_i32 s4, s5, s4
	s_mul_i32 s5, s11, s33
	s_add_i32 s11, s4, s5
	v_cmp_lt_u64_e64 s[4:5], s[18:19], 3
	s_mul_i32 s23, s22, s33
	s_mul_i32 s9, s10, s33
	s_and_b64 vcc, exec, s[4:5]
	s_cbranch_vccnz .LBB0_12
; %bb.3:
	s_add_u32 s4, s30, 16
	s_addc_u32 s5, s31, 0
	s_add_u32 s36, s2, 16
	s_addc_u32 s37, s3, 0
	s_add_u32 s38, s0, 16
	v_mov_b32_e32 v1, s18
	s_addc_u32 s39, s1, 0
	s_mov_b64 s[40:41], 2
	s_mov_b32 s42, 0
	v_mov_b32_e32 v2, s19
.LBB0_4:                                ; =>This Inner Loop Header: Depth=1
	s_load_dwordx2 s[44:45], s[38:39], 0x0
	s_waitcnt lgkmcnt(0)
	s_or_b64 s[0:1], s[24:25], s[44:45]
	s_mov_b32 s43, s1
	s_cmp_lg_u64 s[42:43], 0
	s_cbranch_scc0 .LBB0_9
; %bb.5:                                ;   in Loop: Header=BB0_4 Depth=1
	v_cvt_f32_u32_e32 v3, s44
	v_cvt_f32_u32_e32 v4, s45
	s_sub_u32 s0, 0, s44
	s_subb_u32 s1, 0, s45
	v_mac_f32_e32 v3, 0x4f800000, v4
	v_rcp_f32_e32 v3, v3
	v_mul_f32_e32 v3, 0x5f7ffffc, v3
	v_mul_f32_e32 v4, 0x2f800000, v3
	v_trunc_f32_e32 v4, v4
	v_mac_f32_e32 v3, 0xcf800000, v4
	v_cvt_u32_f32_e32 v4, v4
	v_cvt_u32_f32_e32 v3, v3
	v_readfirstlane_b32 s43, v4
	v_readfirstlane_b32 s46, v3
	s_mul_i32 s47, s0, s43
	s_mul_hi_u32 s50, s0, s46
	s_mul_i32 s49, s1, s46
	s_add_i32 s47, s50, s47
	s_mul_i32 s51, s0, s46
	s_add_i32 s47, s47, s49
	s_mul_hi_u32 s49, s46, s47
	s_mul_i32 s50, s46, s47
	s_mul_hi_u32 s46, s46, s51
	s_add_u32 s46, s46, s50
	s_addc_u32 s49, 0, s49
	s_mul_hi_u32 s52, s43, s51
	s_mul_i32 s51, s43, s51
	s_add_u32 s46, s46, s51
	s_mul_hi_u32 s50, s43, s47
	s_addc_u32 s46, s49, s52
	s_addc_u32 s49, s50, 0
	s_mul_i32 s47, s43, s47
	s_add_u32 s46, s46, s47
	s_addc_u32 s47, 0, s49
	v_add_co_u32_e32 v3, vcc, s46, v3
	s_cmp_lg_u64 vcc, 0
	s_addc_u32 s43, s43, s47
	v_readfirstlane_b32 s47, v3
	s_mul_i32 s46, s0, s43
	s_mul_hi_u32 s49, s0, s47
	s_add_i32 s46, s49, s46
	s_mul_i32 s1, s1, s47
	s_add_i32 s46, s46, s1
	s_mul_i32 s0, s0, s47
	s_mul_hi_u32 s49, s43, s0
	s_mul_i32 s50, s43, s0
	s_mul_i32 s52, s47, s46
	s_mul_hi_u32 s0, s47, s0
	s_mul_hi_u32 s51, s47, s46
	s_add_u32 s0, s0, s52
	s_addc_u32 s47, 0, s51
	s_add_u32 s0, s0, s50
	s_mul_hi_u32 s1, s43, s46
	s_addc_u32 s0, s47, s49
	s_addc_u32 s1, s1, 0
	s_mul_i32 s46, s43, s46
	s_add_u32 s0, s0, s46
	s_addc_u32 s1, 0, s1
	v_add_co_u32_e32 v3, vcc, s0, v3
	s_cmp_lg_u64 vcc, 0
	s_addc_u32 s0, s43, s1
	v_readfirstlane_b32 s46, v3
	s_mul_i32 s43, s24, s0
	s_mul_hi_u32 s47, s24, s46
	s_mul_hi_u32 s1, s24, s0
	s_add_u32 s43, s47, s43
	s_addc_u32 s1, 0, s1
	s_mul_hi_u32 s49, s25, s46
	s_mul_i32 s46, s25, s46
	s_add_u32 s43, s43, s46
	s_mul_hi_u32 s47, s25, s0
	s_addc_u32 s1, s1, s49
	s_addc_u32 s43, s47, 0
	s_mul_i32 s0, s25, s0
	s_add_u32 s46, s1, s0
	s_addc_u32 s43, 0, s43
	s_mul_i32 s0, s44, s43
	s_mul_hi_u32 s1, s44, s46
	s_add_i32 s0, s1, s0
	s_mul_i32 s1, s45, s46
	s_add_i32 s47, s0, s1
	s_mul_i32 s1, s44, s46
	v_mov_b32_e32 v3, s1
	s_sub_i32 s0, s25, s47
	v_sub_co_u32_e32 v3, vcc, s24, v3
	s_cmp_lg_u64 vcc, 0
	s_subb_u32 s49, s0, s45
	v_subrev_co_u32_e64 v4, s[0:1], s44, v3
	s_cmp_lg_u64 s[0:1], 0
	s_subb_u32 s0, s49, 0
	s_cmp_ge_u32 s0, s45
	v_readfirstlane_b32 s49, v4
	s_cselect_b32 s1, -1, 0
	s_cmp_ge_u32 s49, s44
	s_cselect_b32 s49, -1, 0
	s_cmp_eq_u32 s0, s45
	s_cselect_b32 s0, s49, s1
	s_add_u32 s1, s46, 1
	s_addc_u32 s49, s43, 0
	s_add_u32 s50, s46, 2
	s_addc_u32 s51, s43, 0
	s_cmp_lg_u32 s0, 0
	s_cselect_b32 s0, s50, s1
	s_cselect_b32 s1, s51, s49
	s_cmp_lg_u64 vcc, 0
	s_subb_u32 s47, s25, s47
	s_cmp_ge_u32 s47, s45
	v_readfirstlane_b32 s50, v3
	s_cselect_b32 s49, -1, 0
	s_cmp_ge_u32 s50, s44
	s_cselect_b32 s50, -1, 0
	s_cmp_eq_u32 s47, s45
	s_cselect_b32 s47, s50, s49
	s_cmp_lg_u32 s47, 0
	s_cselect_b32 s1, s1, s43
	s_cselect_b32 s0, s0, s46
	s_cbranch_execnz .LBB0_7
.LBB0_6:                                ;   in Loop: Header=BB0_4 Depth=1
	v_cvt_f32_u32_e32 v3, s44
	s_sub_i32 s0, 0, s44
	v_rcp_iflag_f32_e32 v3, v3
	v_mul_f32_e32 v3, 0x4f7ffffe, v3
	v_cvt_u32_f32_e32 v3, v3
	v_readfirstlane_b32 s1, v3
	s_mul_i32 s0, s0, s1
	s_mul_hi_u32 s0, s1, s0
	s_add_i32 s1, s1, s0
	s_mul_hi_u32 s0, s24, s1
	s_mul_i32 s43, s0, s44
	s_sub_i32 s43, s24, s43
	s_add_i32 s1, s0, 1
	s_sub_i32 s46, s43, s44
	s_cmp_ge_u32 s43, s44
	s_cselect_b32 s0, s1, s0
	s_cselect_b32 s43, s46, s43
	s_add_i32 s1, s0, 1
	s_cmp_ge_u32 s43, s44
	s_cselect_b32 s0, s1, s0
	s_mov_b32 s1, s42
.LBB0_7:                                ;   in Loop: Header=BB0_4 Depth=1
	s_mul_i32 s35, s44, s35
	s_mul_hi_u32 s43, s44, s34
	s_add_i32 s35, s43, s35
	s_mul_i32 s43, s45, s34
	s_add_i32 s35, s35, s43
	s_mul_i32 s43, s0, s45
	s_mul_hi_u32 s45, s0, s44
	s_load_dwordx2 s[46:47], s[36:37], 0x0
	s_add_i32 s43, s45, s43
	s_mul_i32 s45, s1, s44
	s_mul_i32 s34, s44, s34
	s_add_i32 s43, s43, s45
	s_mul_i32 s44, s0, s44
	s_sub_u32 s44, s24, s44
	s_subb_u32 s43, s25, s43
	s_waitcnt lgkmcnt(0)
	s_mul_i32 s24, s46, s43
	s_mul_hi_u32 s25, s46, s44
	s_add_i32 s45, s25, s24
	s_load_dwordx2 s[24:25], s[4:5], 0x0
	s_mul_i32 s47, s47, s44
	s_add_i32 s45, s45, s47
	s_mul_i32 s46, s46, s44
	s_add_u32 s23, s46, s23
	s_addc_u32 s48, s45, s48
	s_waitcnt lgkmcnt(0)
	s_mul_i32 s43, s24, s43
	s_mul_hi_u32 s45, s24, s44
	s_add_i32 s43, s45, s43
	s_mul_i32 s25, s25, s44
	s_add_i32 s43, s43, s25
	s_mul_i32 s24, s24, s44
	s_add_u32 s9, s24, s9
	s_addc_u32 s11, s43, s11
	s_add_u32 s40, s40, 1
	s_addc_u32 s41, s41, 0
	;; [unrolled: 2-line block ×4, first 2 shown]
	v_cmp_ge_u64_e32 vcc, s[40:41], v[1:2]
	s_add_u32 s38, s38, 8
	s_addc_u32 s39, s39, 0
	s_cbranch_vccnz .LBB0_10
; %bb.8:                                ;   in Loop: Header=BB0_4 Depth=1
	s_mov_b64 s[24:25], s[0:1]
	s_branch .LBB0_4
.LBB0_9:                                ;   in Loop: Header=BB0_4 Depth=1
                                        ; implicit-def: $sgpr0_sgpr1
	s_branch .LBB0_6
.LBB0_10:
	v_mov_b32_e32 v1, s34
	v_mov_b32_e32 v2, s35
	v_cmp_lt_u64_e32 vcc, s[6:7], v[1:2]
	s_mov_b64 s[24:25], 0
	s_cbranch_vccnz .LBB0_12
; %bb.11:
	v_cvt_f32_u32_e32 v1, s34
	s_sub_i32 s0, 0, s34
	v_rcp_iflag_f32_e32 v1, v1
	v_mul_f32_e32 v1, 0x4f7ffffe, v1
	v_cvt_u32_f32_e32 v1, v1
	v_readfirstlane_b32 s1, v1
	s_mul_i32 s0, s0, s1
	s_mul_hi_u32 s0, s1, s0
	s_add_i32 s1, s1, s0
	s_mul_hi_u32 s0, s6, s1
	s_mul_i32 s4, s0, s34
	s_sub_i32 s4, s6, s4
	s_add_i32 s1, s0, 1
	s_sub_i32 s5, s4, s34
	s_cmp_ge_u32 s4, s34
	s_cselect_b32 s0, s1, s0
	s_cselect_b32 s4, s5, s4
	s_add_i32 s1, s0, 1
	s_cmp_ge_u32 s4, s34
	s_cselect_b32 s24, s1, s0
.LBB0_12:
	s_lshl_b64 s[0:1], s[18:19], 3
	s_add_u32 s2, s2, s0
	s_addc_u32 s3, s3, s1
	s_load_dword s2, s[2:3], 0x0
	v_mul_u32_u24_e32 v1, 0x199a, v0
	v_lshrrev_b32_e32 v36, 16, v1
	v_mul_lo_u16_e32 v1, 10, v36
	v_sub_u16_e32 v35, v0, v1
	s_waitcnt lgkmcnt(0)
	s_mul_i32 s2, s2, s24
	s_add_i32 s2, s2, s23
	s_add_u32 s4, s30, s0
	s_addc_u32 s5, s31, s1
	v_mov_b32_e32 v1, s21
	v_add_co_u32_e32 v33, vcc, s33, v35
	v_addc_co_u32_e32 v34, vcc, 0, v1, vcc
	s_add_u32 s0, s33, 10
	v_mul_lo_u32 v5, s22, v35
	v_mul_lo_u32 v3, s20, v36
	v_mov_b32_e32 v1, s28
	s_addc_u32 s1, s21, 0
	v_mov_b32_e32 v2, s29
	v_cmp_le_u64_e32 vcc, s[0:1], v[1:2]
	v_cmp_gt_u64_e64 s[0:1], s[28:29], v[33:34]
	v_add_lshl_u32 v1, v5, v3, 4
	s_or_b64 vcc, vcc, s[0:1]
	v_cndmask_b32_e32 v6, -1, v1, vcc
	v_add_u32_e32 v1, 40, v36
	v_mul_lo_u32 v1, s20, v1
	s_lshl_b32 s6, s2, 4
	s_mov_b32 s3, 0x20000
	s_mov_b32 s2, -2
	v_add_lshl_u32 v1, v5, v1, 4
	v_cndmask_b32_e32 v7, -1, v1, vcc
	v_add_u32_e32 v1, 0x50, v36
	v_mul_lo_u32 v8, s20, v1
	s_mov_b32 s0, s12
	s_mov_b32 s1, s13
	v_add_u32_e32 v1, 0x78, v36
	v_mul_lo_u32 v9, s20, v1
	buffer_load_dwordx4 v[1:4], v6, s[0:3], s6 offen
	buffer_load_dwordx4 v[13:16], v7, s[0:3], s6 offen
	v_add_lshl_u32 v6, v5, v8, 4
	v_add_u32_e32 v8, 0xa0, v36
	v_mul_lo_u32 v8, s20, v8
	v_add_lshl_u32 v7, v5, v9, 4
	v_cndmask_b32_e32 v6, -1, v6, vcc
	v_cndmask_b32_e32 v7, -1, v7, vcc
	v_add_lshl_u32 v5, v5, v8, 4
	v_cndmask_b32_e32 v5, -1, v5, vcc
	buffer_load_dwordx4 v[17:20], v6, s[0:3], s6 offen
	buffer_load_dwordx4 v[9:12], v7, s[0:3], s6 offen
	s_mov_b32 s12, 0x134454ff
	buffer_load_dwordx4 v[5:8], v5, s[0:3], s6 offen
	s_mov_b32 s13, 0x3fee6f0e
	s_mov_b32 s21, 0xbfee6f0e
	;; [unrolled: 1-line block ×9, first 2 shown]
	s_movk_i32 s11, 0x320
	s_movk_i32 s0, 0xfa
	v_cmp_gt_u32_e64 s[0:1], s0, v0
	v_lshlrev_b32_e32 v34, 4, v35
	s_waitcnt vmcnt(3)
	v_add_f64 v[21:22], v[1:2], v[13:14]
	v_add_f64 v[43:44], v[3:4], v[15:16]
	s_waitcnt vmcnt(2)
	v_add_f64 v[29:30], v[13:14], -v[17:18]
	s_waitcnt vmcnt(1)
	v_add_f64 v[23:24], v[17:18], v[9:10]
	v_add_f64 v[45:46], v[19:20], v[11:12]
	s_waitcnt vmcnt(0)
	v_add_f64 v[31:32], v[5:6], -v[9:10]
	v_add_f64 v[37:38], v[13:14], v[5:6]
	v_add_f64 v[53:54], v[15:16], v[7:8]
	v_add_f64 v[25:26], v[15:16], -v[7:8]
	v_add_f64 v[27:28], v[19:20], -v[11:12]
	;; [unrolled: 1-line block ×8, first 2 shown]
	v_add_f64 v[17:18], v[21:22], v[17:18]
	v_fma_f64 v[21:22], v[23:24], -0.5, v[1:2]
	v_add_f64 v[23:24], v[29:30], v[31:32]
	v_fma_f64 v[1:2], v[37:38], -0.5, v[1:2]
	;; [unrolled: 2-line block ×3, first 2 shown]
	v_fma_f64 v[3:4], v[53:54], -0.5, v[3:4]
	v_add_f64 v[51:52], v[7:8], -v[11:12]
	v_add_f64 v[55:56], v[11:12], -v[7:8]
	v_add_f64 v[29:30], v[39:40], v[41:42]
	v_add_f64 v[9:10], v[17:18], v[9:10]
	v_fma_f64 v[17:18], v[25:26], s[12:13], v[21:22]
	v_fma_f64 v[21:22], v[25:26], s[20:21], v[21:22]
	;; [unrolled: 1-line block ×4, first 2 shown]
	v_add_f64 v[11:12], v[19:20], v[11:12]
	v_fma_f64 v[19:20], v[13:14], s[20:21], v[31:32]
	v_fma_f64 v[31:32], v[13:14], s[12:13], v[31:32]
	;; [unrolled: 1-line block ×4, first 2 shown]
	v_add_f64 v[37:38], v[49:50], v[51:52]
	v_add_f64 v[15:16], v[15:16], v[55:56]
	;; [unrolled: 1-line block ×3, first 2 shown]
	v_fma_f64 v[5:6], v[27:28], s[6:7], v[17:18]
	v_fma_f64 v[9:10], v[27:28], s[18:19], v[21:22]
	v_fma_f64 v[17:18], v[25:26], s[6:7], v[39:40]
	v_fma_f64 v[25:26], v[25:26], s[18:19], v[41:42]
	v_add_f64 v[3:4], v[11:12], v[7:8]
	v_fma_f64 v[7:8], v[47:48], s[18:19], v[19:20]
	v_fma_f64 v[11:12], v[13:14], s[18:19], v[43:44]
	;; [unrolled: 1-line block ×12, first 2 shown]
	s_load_dwordx2 s[2:3], s[4:5], 0x0
	v_mad_u32_u24 v13, v36, s11, 0
	v_lshl_add_u32 v14, v35, 4, v13
	ds_write_b128 v14, v[1:4]
	ds_write_b128 v14, v[21:24] offset:160
	ds_write_b128 v14, v[5:8] offset:320
	;; [unrolled: 1-line block ×4, first 2 shown]
	s_waitcnt lgkmcnt(0)
	s_barrier
	s_waitcnt lgkmcnt(0)
                                        ; implicit-def: $vgpr15_vgpr16
                                        ; implicit-def: $vgpr19_vgpr20
                                        ; implicit-def: $vgpr31_vgpr32
	s_and_saveexec_b64 s[4:5], s[0:1]
	s_cbranch_execz .LBB0_14
; %bb.13:
	v_mul_i32_i24_e32 v1, 0xfffffd80, v36
	v_add3_u32 v17, v13, v1, v34
	ds_read_b128 v[1:4], v17
	ds_read_b128 v[21:24], v17 offset:4000
	ds_read_b128 v[5:8], v17 offset:8000
	;; [unrolled: 1-line block ×7, first 2 shown]
.LBB0_14:
	s_or_b64 exec, exec, s[4:5]
	s_waitcnt lgkmcnt(0)
	s_barrier
	s_and_saveexec_b64 s[4:5], s[0:1]
	s_cbranch_execz .LBB0_16
; %bb.15:
	v_mul_lo_u16_e32 v38, 52, v36
	v_mov_b32_e32 v37, 5
	v_mul_lo_u16_sdwa v37, v38, v37 dst_sel:DWORD dst_unused:UNUSED_PAD src0_sel:BYTE_1 src1_sel:DWORD
	v_sub_u16_e32 v37, v36, v37
	v_mov_b32_e32 v39, 7
	v_mul_u32_u24_sdwa v39, v37, v39 dst_sel:DWORD dst_unused:UNUSED_PAD src0_sel:BYTE_0 src1_sel:DWORD
	v_lshlrev_b32_e32 v61, 4, v39
	global_load_dwordx4 v[39:42], v61, s[26:27]
	global_load_dwordx4 v[43:46], v61, s[26:27] offset:64
	global_load_dwordx4 v[47:50], v61, s[26:27] offset:16
	;; [unrolled: 1-line block ×3, first 2 shown]
	s_mov_b32 s0, 0x667f3bcd
	s_mov_b32 s1, 0x3fe6a09e
	s_mov_b32 s7, 0xbfe6a09e
	s_mov_b32 s6, s0
	s_waitcnt vmcnt(3)
	v_mul_f64 v[55:56], v[23:24], v[41:42]
	v_mul_f64 v[41:42], v[21:22], v[41:42]
	s_waitcnt vmcnt(2)
	v_mul_f64 v[57:58], v[31:32], v[45:46]
	v_fma_f64 v[55:56], v[21:22], v[39:40], -v[55:56]
	v_fma_f64 v[59:60], v[23:24], v[39:40], v[41:42]
	global_load_dwordx4 v[21:24], v61, s[26:27] offset:32
	v_mul_f64 v[39:40], v[29:30], v[45:46]
	v_fma_f64 v[45:46], v[29:30], v[43:44], -v[57:58]
	v_fma_f64 v[43:44], v[31:32], v[43:44], v[39:40]
	global_load_dwordx4 v[29:32], v61, s[26:27] offset:48
	global_load_dwordx4 v[39:42], v61, s[26:27] offset:96
	s_waitcnt vmcnt(2)
	v_mul_f64 v[57:58], v[25:26], v[23:24]
	v_mul_f64 v[23:24], v[27:28], v[23:24]
	v_fma_f64 v[27:28], v[27:28], v[21:22], v[57:58]
	v_fma_f64 v[21:22], v[25:26], v[21:22], -v[23:24]
	s_waitcnt vmcnt(1)
	v_mul_f64 v[23:24], v[9:10], v[31:32]
	v_mul_f64 v[25:26], v[11:12], v[31:32]
	;; [unrolled: 1-line block ×3, first 2 shown]
	v_mov_b32_e32 v57, 40
	v_mul_u32_u24_sdwa v38, v38, v57 dst_sel:DWORD dst_unused:UNUSED_PAD src0_sel:BYTE_1 src1_sel:DWORD
	v_fma_f64 v[11:12], v[11:12], v[29:30], v[23:24]
	v_fma_f64 v[9:10], v[9:10], v[29:30], -v[25:26]
	s_waitcnt vmcnt(0)
	v_mul_f64 v[23:24], v[19:20], v[41:42]
	v_mul_f64 v[25:26], v[15:16], v[53:54]
	;; [unrolled: 1-line block ×5, first 2 shown]
	v_fma_f64 v[5:6], v[5:6], v[47:48], -v[31:32]
	v_add_f64 v[11:12], v[3:4], -v[11:12]
	v_add_f64 v[9:10], v[1:2], -v[9:10]
	v_fma_f64 v[17:18], v[17:18], v[39:40], -v[23:24]
	v_fma_f64 v[13:14], v[13:14], v[51:52], -v[25:26]
	v_fma_f64 v[7:8], v[7:8], v[47:48], v[29:30]
	v_fma_f64 v[15:16], v[15:16], v[51:52], v[49:50]
	;; [unrolled: 1-line block ×3, first 2 shown]
	v_add_f64 v[23:24], v[59:60], -v[43:44]
	v_add_f64 v[25:26], v[55:56], -v[45:46]
	v_or_b32_sdwa v31, v38, v37 dst_sel:DWORD dst_unused:UNUSED_PAD src0_sel:DWORD src1_sel:BYTE_0
	v_add_f64 v[17:18], v[21:22], -v[17:18]
	v_add_f64 v[13:14], v[5:6], -v[13:14]
	v_mul_u32_u24_e32 v51, 0xa0, v31
	v_add_f64 v[15:16], v[7:8], -v[15:16]
	v_add_f64 v[19:20], v[27:28], -v[19:20]
	v_fma_f64 v[3:4], v[3:4], 2.0, -v[11:12]
	v_fma_f64 v[1:2], v[1:2], 2.0, -v[9:10]
	;; [unrolled: 1-line block ×3, first 2 shown]
	v_add_f64 v[31:32], v[23:24], v[17:18]
	v_add_f64 v[29:30], v[11:12], v[13:14]
	v_fma_f64 v[39:40], v[59:60], 2.0, -v[23:24]
	v_fma_f64 v[17:18], v[21:22], 2.0, -v[17:18]
	;; [unrolled: 1-line block ×5, first 2 shown]
	v_add_f64 v[13:14], v[25:26], -v[19:20]
	v_add_f64 v[21:22], v[9:10], -v[15:16]
	v_fma_f64 v[41:42], v[11:12], 2.0, -v[29:30]
	v_fma_f64 v[19:20], v[23:24], 2.0, -v[31:32]
	v_add_f64 v[15:16], v[37:38], -v[17:18]
	v_add_f64 v[11:12], v[39:40], -v[27:28]
	;; [unrolled: 1-line block ×4, first 2 shown]
	v_fma_f64 v[25:26], v[25:26], 2.0, -v[13:14]
	v_fma_f64 v[43:44], v[9:10], 2.0, -v[21:22]
	v_fma_f64 v[5:6], v[31:32], s[0:1], v[29:30]
	v_fma_f64 v[9:10], v[13:14], s[0:1], v[21:22]
	v_fma_f64 v[37:38], v[37:38], 2.0, -v[15:16]
	v_fma_f64 v[27:28], v[39:40], 2.0, -v[11:12]
	;; [unrolled: 1-line block ×4, first 2 shown]
	v_fma_f64 v[47:48], v[19:20], s[6:7], v[41:42]
	v_fma_f64 v[49:50], v[25:26], s[6:7], v[43:44]
	v_add_f64 v[3:4], v[17:18], v[15:16]
	v_add_f64 v[1:2], v[23:24], -v[11:12]
	v_fma_f64 v[7:8], v[13:14], s[0:1], v[5:6]
	v_fma_f64 v[5:6], v[31:32], s[6:7], v[9:10]
	v_add_f64 v[11:12], v[39:40], -v[27:28]
	v_add_f64 v[9:10], v[45:46], -v[37:38]
	v_fma_f64 v[15:16], v[25:26], s[0:1], v[47:48]
	v_fma_f64 v[13:14], v[19:20], s[6:7], v[49:50]
	v_fma_f64 v[19:20], v[17:18], 2.0, -v[3:4]
	v_fma_f64 v[17:18], v[23:24], 2.0, -v[1:2]
	;; [unrolled: 1-line block ×8, first 2 shown]
	v_add3_u32 v37, 0, v51, v34
	ds_write_b128 v37, v[1:4] offset:4800
	ds_write_b128 v37, v[17:20] offset:1600
	;; [unrolled: 1-line block ×5, first 2 shown]
	ds_write_b128 v37, v[25:28]
	ds_write_b128 v37, v[29:32] offset:800
	ds_write_b128 v37, v[5:8] offset:5600
.LBB0_16:
	s_or_b64 exec, exec, s[4:5]
	v_mul_lo_u16_e32 v1, 13, v36
	v_lshrrev_b16_e32 v1, 9, v1
	v_mul_lo_u16_e32 v1, 40, v1
	v_sub_u16_e32 v1, v36, v1
	v_and_b32_e32 v9, 0xff, v1
	v_lshlrev_b32_e32 v32, 6, v9
	s_waitcnt lgkmcnt(0)
	s_barrier
	global_load_dwordx4 v[5:8], v32, s[26:27] offset:560
	global_load_dwordx4 v[1:4], v32, s[26:27] offset:576
	global_load_dwordx4 v[12:15], v32, s[26:27] offset:592
	v_mul_u32_u24_e32 v16, 0xa0, v36
	v_add3_u32 v34, 0, v16, v34
	ds_read_b128 v[16:19], v34 offset:12800
	ds_read_b128 v[20:23], v34 offset:19200
	;; [unrolled: 1-line block ×3, first 2 shown]
	ds_read_b128 v[28:31], v34
	global_load_dwordx4 v[36:39], v32, s[26:27] offset:608
	v_mul_lo_u32 v40, v33, v9
	v_add_u32_e32 v41, 40, v9
	v_add_u32_e32 v42, 0x50, v9
	v_mul_lo_u32 v32, v33, v41
	v_mul_lo_u32 v41, v33, v42
	v_mov_b32_e32 v10, 4
	v_mov_b32_e32 v11, 0x1000
	v_lshlrev_b32_sdwa v50, v10, v40 dst_sel:DWORD dst_unused:UNUSED_PAD src0_sel:DWORD src1_sel:BYTE_0
	v_bfe_u32 v40, v40, 8, 8
	v_lshl_or_b32 v51, v40, 4, v11
	v_lshlrev_b32_sdwa v59, v10, v41 dst_sel:DWORD dst_unused:UNUSED_PAD src0_sel:DWORD src1_sel:BYTE_0
	v_bfe_u32 v54, v41, 8, 8
	global_load_dwordx4 v[40:43], v50, s[16:17]
	global_load_dwordx4 v[44:47], v51, s[16:17]
	v_lshlrev_b32_sdwa v58, v10, v32 dst_sel:DWORD dst_unused:UNUSED_PAD src0_sel:DWORD src1_sel:BYTE_0
	v_bfe_u32 v32, v32, 8, 8
	v_lshl_or_b32 v32, v32, 4, v11
	v_lshl_or_b32 v60, v54, 4, v11
	s_mov_b32 s19, 0xbfee6f0e
	s_mov_b32 s18, s12
	;; [unrolled: 1-line block ×8, first 2 shown]
	s_mul_i32 s2, s2, s24
	s_add_i32 s2, s2, s9
	s_mov_b32 s3, 0x20000
	s_waitcnt vmcnt(5) lgkmcnt(1)
	v_mul_f64 v[48:49], v[26:27], v[7:8]
	v_mul_f64 v[7:8], v[24:25], v[7:8]
	s_waitcnt vmcnt(4)
	v_mul_f64 v[50:51], v[18:19], v[3:4]
	v_mul_f64 v[52:53], v[16:17], v[3:4]
	v_fma_f64 v[54:55], v[24:25], v[5:6], -v[48:49]
	v_fma_f64 v[56:57], v[26:27], v[5:6], v[7:8]
	global_load_dwordx4 v[3:6], v58, s[16:17]
	global_load_dwordx4 v[24:27], v32, s[16:17]
	v_fma_f64 v[7:8], v[16:17], v[1:2], -v[50:51]
	v_fma_f64 v[52:53], v[18:19], v[1:2], v[52:53]
	global_load_dwordx4 v[16:19], v59, s[16:17]
	global_load_dwordx4 v[48:51], v60, s[16:17]
	s_waitcnt vmcnt(7)
	v_mul_f64 v[1:2], v[22:23], v[14:15]
	v_mul_f64 v[14:15], v[20:21], v[14:15]
	v_add_u32_e32 v32, 0x78, v9
	v_mul_lo_u32 v60, v33, v32
	v_lshlrev_b32_sdwa v64, v10, v60 dst_sel:DWORD dst_unused:UNUSED_PAD src0_sel:DWORD src1_sel:BYTE_0
	v_fma_f64 v[1:2], v[20:21], v[12:13], -v[1:2]
	v_fma_f64 v[20:21], v[22:23], v[12:13], v[14:15]
	ds_read_b128 v[12:15], v34 offset:25600
	v_add_u32_e32 v34, 0xa0, v9
	v_mul_lo_u32 v34, v33, v34
	s_waitcnt vmcnt(6) lgkmcnt(0)
	v_mul_f64 v[22:23], v[14:15], v[38:39]
	v_mul_f64 v[38:39], v[12:13], v[38:39]
	v_add_f64 v[58:59], v[7:8], -v[1:2]
	v_fma_f64 v[12:13], v[12:13], v[36:37], -v[22:23]
	s_waitcnt vmcnt(4)
	v_mul_f64 v[22:23], v[42:43], v[46:47]
	v_fma_f64 v[14:15], v[14:15], v[36:37], v[38:39]
	v_mul_f64 v[36:37], v[40:41], v[46:47]
	v_add_f64 v[46:47], v[7:8], -v[54:55]
	v_fma_f64 v[22:23], v[40:41], v[44:45], -v[22:23]
	v_fma_f64 v[36:37], v[42:43], v[44:45], v[36:37]
	v_add_f64 v[44:45], v[12:13], -v[1:2]
	s_waitcnt vmcnt(2)
	v_mul_f64 v[38:39], v[5:6], v[26:27]
	v_mul_f64 v[26:27], v[3:4], v[26:27]
	s_waitcnt vmcnt(0)
	v_mul_f64 v[40:41], v[18:19], v[50:51]
	v_mul_f64 v[42:43], v[16:17], v[50:51]
	v_add_f64 v[50:51], v[30:31], v[56:57]
	v_fma_f64 v[32:33], v[3:4], v[24:25], -v[38:39]
	v_fma_f64 v[24:25], v[5:6], v[24:25], v[26:27]
	v_add_f64 v[5:6], v[7:8], v[1:2]
	v_fma_f64 v[26:27], v[16:17], v[48:49], -v[40:41]
	v_add_f64 v[16:17], v[54:55], -v[7:8]
	v_fma_f64 v[38:39], v[18:19], v[48:49], v[42:43]
	v_add_f64 v[3:4], v[28:29], v[54:55]
	v_add_f64 v[18:19], v[54:55], v[12:13]
	;; [unrolled: 1-line block ×4, first 2 shown]
	v_add_f64 v[48:49], v[1:2], -v[12:13]
	v_fma_f64 v[5:6], v[5:6], -0.5, v[28:29]
	v_add_f64 v[16:17], v[16:17], v[44:45]
	v_add_f64 v[44:45], v[56:57], -v[14:15]
	v_add_f64 v[3:4], v[3:4], v[7:8]
	v_fma_f64 v[18:19], v[18:19], -0.5, v[28:29]
	v_fma_f64 v[28:29], v[40:41], -0.5, v[30:31]
	;; [unrolled: 1-line block ×3, first 2 shown]
	v_add_f64 v[40:41], v[56:57], -v[52:53]
	v_add_f64 v[42:43], v[14:15], -v[20:21]
	v_add_f64 v[46:47], v[46:47], v[48:49]
	v_add_f64 v[48:49], v[52:53], -v[20:21]
	v_fma_f64 v[7:8], v[44:45], s[12:13], v[5:6]
	v_fma_f64 v[5:6], v[44:45], s[18:19], v[5:6]
	v_add_f64 v[1:2], v[3:4], v[1:2]
	v_add_f64 v[54:55], v[54:55], -v[12:13]
	v_add_f64 v[40:41], v[40:41], v[42:43]
	v_add_f64 v[42:43], v[50:51], v[52:53]
	v_fma_f64 v[3:4], v[48:49], s[18:19], v[18:19]
	v_fma_f64 v[18:19], v[48:49], s[12:13], v[18:19]
	;; [unrolled: 1-line block ×4, first 2 shown]
	v_bfe_u32 v50, v60, 8, 8
	v_lshl_or_b32 v65, v50, 4, v11
	v_add_f64 v[52:53], v[52:53], -v[56:57]
	v_add_f64 v[42:43], v[42:43], v[20:21]
	v_fma_f64 v[50:51], v[44:45], s[4:5], v[3:4]
	v_fma_f64 v[18:19], v[44:45], s[6:7], v[18:19]
	v_add_f64 v[44:45], v[1:2], v[12:13]
	v_fma_f64 v[60:61], v[16:17], s[0:1], v[7:8]
	v_fma_f64 v[62:63], v[16:17], s[0:1], v[5:6]
	global_load_dwordx4 v[1:4], v64, s[16:17]
	global_load_dwordx4 v[5:8], v65, s[16:17]
	v_lshlrev_b32_sdwa v56, v10, v34 dst_sel:DWORD dst_unused:UNUSED_PAD src0_sel:DWORD src1_sel:BYTE_0
	v_bfe_u32 v10, v34, 8, 8
	v_add_f64 v[42:43], v[42:43], v[14:15]
	v_add_f64 v[20:21], v[20:21], -v[14:15]
	v_lshl_or_b32 v34, v10, 4, v11
	global_load_dwordx4 v[10:13], v56, s[16:17]
	global_load_dwordx4 v[14:17], v34, s[16:17]
	v_fma_f64 v[48:49], v[54:55], s[18:19], v[28:29]
	v_fma_f64 v[28:29], v[54:55], s[12:13], v[28:29]
	;; [unrolled: 1-line block ×6, first 2 shown]
	v_add_f64 v[20:21], v[52:53], v[20:21]
	v_mul_f64 v[52:53], v[42:43], v[36:37]
	v_fma_f64 v[48:49], v[58:59], s[6:7], v[48:49]
	v_fma_f64 v[28:29], v[58:59], s[4:5], v[28:29]
	;; [unrolled: 1-line block ×4, first 2 shown]
	s_lshl_b32 s4, s2, 4
	s_mov_b32 s2, -2
	v_fma_f64 v[48:49], v[40:41], s[0:1], v[48:49]
	v_fma_f64 v[28:29], v[40:41], s[0:1], v[28:29]
	;; [unrolled: 1-line block ×3, first 2 shown]
	v_fma_f64 v[18:19], v[44:45], v[22:23], -v[52:53]
	v_fma_f64 v[30:31], v[20:21], s[0:1], v[30:31]
	s_movk_i32 s0, 0xa4
	v_mul_u32_u24_sdwa v0, v0, s0 dst_sel:DWORD dst_unused:UNUSED_PAD src0_sel:WORD_0 src1_sel:DWORD
	s_movk_i32 s0, 0xc8
	v_mul_lo_u16_sdwa v0, v0, s0 dst_sel:DWORD dst_unused:UNUSED_PAD src0_sel:WORD_1 src1_sel:DWORD
	v_add_u32_e32 v0, v9, v0
	v_mul_lo_u32 v9, s8, v0
	s_mov_b32 s0, s14
	s_mov_b32 s1, s15
	s_waitcnt vmcnt(2)
	v_mul_f64 v[54:55], v[1:2], v[7:8]
	v_mul_f64 v[7:8], v[3:4], v[7:8]
	v_fma_f64 v[52:53], v[3:4], v[5:6], v[54:55]
	v_mul_f64 v[3:4], v[44:45], v[36:37]
	v_fma_f64 v[36:37], v[1:2], v[5:6], -v[7:8]
	s_waitcnt vmcnt(0)
	v_mul_f64 v[1:2], v[10:11], v[16:17]
	v_mul_f64 v[5:6], v[48:49], v[24:25]
	v_mul_f64 v[7:8], v[60:61], v[24:25]
	v_mul_f64 v[24:25], v[40:41], v[38:39]
	v_mul_f64 v[38:39], v[50:51], v[38:39]
	v_mul_f64 v[16:17], v[12:13], v[16:17]
	v_fma_f64 v[20:21], v[42:43], v[22:23], v[3:4]
	v_mul_f64 v[44:45], v[30:31], v[52:53]
	v_fma_f64 v[22:23], v[12:13], v[14:15], v[1:2]
	v_fma_f64 v[1:2], v[60:61], v[32:33], -v[5:6]
	v_fma_f64 v[3:4], v[48:49], v[32:33], v[7:8]
	v_fma_f64 v[5:6], v[50:51], v[26:27], -v[24:25]
	v_fma_f64 v[7:8], v[40:41], v[26:27], v[38:39]
	v_mul_f64 v[24:25], v[46:47], v[52:53]
	v_fma_f64 v[10:11], v[10:11], v[14:15], -v[16:17]
	v_mul_lo_u32 v32, s10, v35
	v_mul_f64 v[16:17], v[28:29], v[22:23]
	v_mul_f64 v[26:27], v[62:63], v[22:23]
	v_fma_f64 v[12:13], v[46:47], v[36:37], -v[44:45]
	v_add_lshl_u32 v9, v32, v9, 4
	v_cndmask_b32_e32 v9, -1, v9, vcc
	v_fma_f64 v[14:15], v[30:31], v[36:37], v[24:25]
	buffer_store_dwordx4 v[18:21], v9, s[0:3], s4 offen
	v_add_u32_e32 v9, 0x50, v0
	v_fma_f64 v[22:23], v[62:63], v[10:11], -v[16:17]
	v_fma_f64 v[24:25], v[28:29], v[10:11], v[26:27]
	v_add_u32_e32 v10, 40, v0
	v_mul_lo_u32 v10, s8, v10
	v_mul_lo_u32 v9, s8, v9
	v_add_lshl_u32 v10, v32, v10, 4
	v_cndmask_b32_e32 v10, -1, v10, vcc
	buffer_store_dwordx4 v[1:4], v10, s[0:3], s4 offen
	v_add_u32_e32 v2, 0x78, v0
	v_add_u32_e32 v0, 0xa0, v0
	v_mul_lo_u32 v2, s8, v2
	v_mul_lo_u32 v0, s8, v0
	v_add_lshl_u32 v1, v32, v9, 4
	v_cndmask_b32_e32 v1, -1, v1, vcc
	buffer_store_dwordx4 v[5:8], v1, s[0:3], s4 offen
	v_add_lshl_u32 v1, v32, v2, 4
	v_add_lshl_u32 v0, v32, v0, 4
	v_cndmask_b32_e32 v1, -1, v1, vcc
	v_cndmask_b32_e32 v0, -1, v0, vcc
	buffer_store_dwordx4 v[12:15], v1, s[0:3], s4 offen
	buffer_store_dwordx4 v[22:25], v0, s[0:3], s4 offen
	s_endpgm
	.section	.rodata,"a",@progbits
	.p2align	6, 0x0
	.amdhsa_kernel fft_rtc_fwd_len200_factors_5_8_5_wgs_400_tpt_40_dp_op_CI_CI_sbcc_twdbase8_2step_dirReg_intrinsicReadWrite
		.amdhsa_group_segment_fixed_size 0
		.amdhsa_private_segment_fixed_size 0
		.amdhsa_kernarg_size 112
		.amdhsa_user_sgpr_count 6
		.amdhsa_user_sgpr_private_segment_buffer 1
		.amdhsa_user_sgpr_dispatch_ptr 0
		.amdhsa_user_sgpr_queue_ptr 0
		.amdhsa_user_sgpr_kernarg_segment_ptr 1
		.amdhsa_user_sgpr_dispatch_id 0
		.amdhsa_user_sgpr_flat_scratch_init 0
		.amdhsa_user_sgpr_private_segment_size 0
		.amdhsa_uses_dynamic_stack 0
		.amdhsa_system_sgpr_private_segment_wavefront_offset 0
		.amdhsa_system_sgpr_workgroup_id_x 1
		.amdhsa_system_sgpr_workgroup_id_y 0
		.amdhsa_system_sgpr_workgroup_id_z 0
		.amdhsa_system_sgpr_workgroup_info 0
		.amdhsa_system_vgpr_workitem_id 0
		.amdhsa_next_free_vgpr 66
		.amdhsa_next_free_sgpr 53
		.amdhsa_reserve_vcc 1
		.amdhsa_reserve_flat_scratch 0
		.amdhsa_float_round_mode_32 0
		.amdhsa_float_round_mode_16_64 0
		.amdhsa_float_denorm_mode_32 3
		.amdhsa_float_denorm_mode_16_64 3
		.amdhsa_dx10_clamp 1
		.amdhsa_ieee_mode 1
		.amdhsa_fp16_overflow 0
		.amdhsa_exception_fp_ieee_invalid_op 0
		.amdhsa_exception_fp_denorm_src 0
		.amdhsa_exception_fp_ieee_div_zero 0
		.amdhsa_exception_fp_ieee_overflow 0
		.amdhsa_exception_fp_ieee_underflow 0
		.amdhsa_exception_fp_ieee_inexact 0
		.amdhsa_exception_int_div_zero 0
	.end_amdhsa_kernel
	.text
.Lfunc_end0:
	.size	fft_rtc_fwd_len200_factors_5_8_5_wgs_400_tpt_40_dp_op_CI_CI_sbcc_twdbase8_2step_dirReg_intrinsicReadWrite, .Lfunc_end0-fft_rtc_fwd_len200_factors_5_8_5_wgs_400_tpt_40_dp_op_CI_CI_sbcc_twdbase8_2step_dirReg_intrinsicReadWrite
                                        ; -- End function
	.section	.AMDGPU.csdata,"",@progbits
; Kernel info:
; codeLenInByte = 5112
; NumSgprs: 57
; NumVgprs: 66
; ScratchSize: 0
; MemoryBound: 0
; FloatMode: 240
; IeeeMode: 1
; LDSByteSize: 0 bytes/workgroup (compile time only)
; SGPRBlocks: 7
; VGPRBlocks: 16
; NumSGPRsForWavesPerEU: 57
; NumVGPRsForWavesPerEU: 66
; Occupancy: 3
; WaveLimiterHint : 0
; COMPUTE_PGM_RSRC2:SCRATCH_EN: 0
; COMPUTE_PGM_RSRC2:USER_SGPR: 6
; COMPUTE_PGM_RSRC2:TRAP_HANDLER: 0
; COMPUTE_PGM_RSRC2:TGID_X_EN: 1
; COMPUTE_PGM_RSRC2:TGID_Y_EN: 0
; COMPUTE_PGM_RSRC2:TGID_Z_EN: 0
; COMPUTE_PGM_RSRC2:TIDIG_COMP_CNT: 0
	.type	__hip_cuid_fcd77ec8bb3e56b,@object ; @__hip_cuid_fcd77ec8bb3e56b
	.section	.bss,"aw",@nobits
	.globl	__hip_cuid_fcd77ec8bb3e56b
__hip_cuid_fcd77ec8bb3e56b:
	.byte	0                               ; 0x0
	.size	__hip_cuid_fcd77ec8bb3e56b, 1

	.ident	"AMD clang version 19.0.0git (https://github.com/RadeonOpenCompute/llvm-project roc-6.4.0 25133 c7fe45cf4b819c5991fe208aaa96edf142730f1d)"
	.section	".note.GNU-stack","",@progbits
	.addrsig
	.addrsig_sym __hip_cuid_fcd77ec8bb3e56b
	.amdgpu_metadata
---
amdhsa.kernels:
  - .args:
      - .actual_access:  read_only
        .address_space:  global
        .offset:         0
        .size:           8
        .value_kind:     global_buffer
      - .address_space:  global
        .offset:         8
        .size:           8
        .value_kind:     global_buffer
      - .offset:         16
        .size:           8
        .value_kind:     by_value
      - .actual_access:  read_only
        .address_space:  global
        .offset:         24
        .size:           8
        .value_kind:     global_buffer
      - .actual_access:  read_only
        .address_space:  global
        .offset:         32
        .size:           8
        .value_kind:     global_buffer
      - .actual_access:  read_only
        .address_space:  global
        .offset:         40
        .size:           8
        .value_kind:     global_buffer
      - .offset:         48
        .size:           8
        .value_kind:     by_value
      - .actual_access:  read_only
        .address_space:  global
        .offset:         56
        .size:           8
        .value_kind:     global_buffer
      - .actual_access:  read_only
        .address_space:  global
        .offset:         64
        .size:           8
        .value_kind:     global_buffer
      - .offset:         72
        .size:           4
        .value_kind:     by_value
      - .actual_access:  read_only
        .address_space:  global
        .offset:         80
        .size:           8
        .value_kind:     global_buffer
      - .actual_access:  read_only
        .address_space:  global
        .offset:         88
        .size:           8
        .value_kind:     global_buffer
      - .address_space:  global
        .offset:         96
        .size:           8
        .value_kind:     global_buffer
      - .address_space:  global
        .offset:         104
        .size:           8
        .value_kind:     global_buffer
    .group_segment_fixed_size: 0
    .kernarg_segment_align: 8
    .kernarg_segment_size: 112
    .language:       OpenCL C
    .language_version:
      - 2
      - 0
    .max_flat_workgroup_size: 400
    .name:           fft_rtc_fwd_len200_factors_5_8_5_wgs_400_tpt_40_dp_op_CI_CI_sbcc_twdbase8_2step_dirReg_intrinsicReadWrite
    .private_segment_fixed_size: 0
    .sgpr_count:     57
    .sgpr_spill_count: 0
    .symbol:         fft_rtc_fwd_len200_factors_5_8_5_wgs_400_tpt_40_dp_op_CI_CI_sbcc_twdbase8_2step_dirReg_intrinsicReadWrite.kd
    .uniform_work_group_size: 1
    .uses_dynamic_stack: false
    .vgpr_count:     66
    .vgpr_spill_count: 0
    .wavefront_size: 64
amdhsa.target:   amdgcn-amd-amdhsa--gfx906
amdhsa.version:
  - 1
  - 2
...

	.end_amdgpu_metadata
